;; amdgpu-corpus repo=zjin-lcf/HeCBench kind=compiled arch=gfx906 opt=O3
	.amdgcn_target "amdgcn-amd-amdhsa--gfx906"
	.amdhsa_code_object_version 6
	.section	.text._Z9AoSKernelILi4096EEvPK9AppleTreePi,"axG",@progbits,_Z9AoSKernelILi4096EEvPK9AppleTreePi,comdat
	.protected	_Z9AoSKernelILi4096EEvPK9AppleTreePi ; -- Begin function _Z9AoSKernelILi4096EEvPK9AppleTreePi
	.globl	_Z9AoSKernelILi4096EEvPK9AppleTreePi
	.p2align	8
	.type	_Z9AoSKernelILi4096EEvPK9AppleTreePi,@function
_Z9AoSKernelILi4096EEvPK9AppleTreePi:   ; @_Z9AoSKernelILi4096EEvPK9AppleTreePi
; %bb.0:
	s_load_dword s7, s[4:5], 0x1c
	s_load_dwordx4 s[0:3], s[4:5], 0x0
	v_mov_b32_e32 v1, 0
	s_waitcnt lgkmcnt(0)
	s_and_b32 s4, s7, 0xffff
	s_mul_i32 s6, s6, s4
	v_add_u32_e32 v0, s6, v0
	v_lshlrev_b64 v[2:3], 14, v[0:1]
	v_mov_b32_e32 v4, s1
	v_add_co_u32_e32 v2, vcc, s0, v2
	v_addc_co_u32_e32 v3, vcc, v4, v3, vcc
	s_mov_b64 s[0:1], 0
	v_mov_b32_e32 v4, v1
.LBB0_1:                                ; =>This Inner Loop Header: Depth=1
	v_mov_b32_e32 v5, s1
	v_add_co_u32_e32 v21, vcc, s0, v2
	v_addc_co_u32_e32 v22, vcc, v3, v5, vcc
	global_load_dwordx4 v[5:8], v[21:22], off
	global_load_dwordx4 v[9:12], v[21:22], off offset:16
	global_load_dwordx4 v[13:16], v[21:22], off offset:32
	;; [unrolled: 1-line block ×3, first 2 shown]
	s_add_u32 s0, s0, 64
	s_addc_u32 s1, s1, 0
	s_cmpk_eq_i32 s0, 0x4000
	s_waitcnt vmcnt(3)
	v_add3_u32 v4, v5, v4, v6
	v_add3_u32 v4, v7, v4, v8
	s_waitcnt vmcnt(2)
	v_add3_u32 v4, v9, v4, v10
	v_add3_u32 v4, v11, v4, v12
	;; [unrolled: 3-line block ×4, first 2 shown]
	s_cbranch_scc0 .LBB0_1
; %bb.2:
	v_lshlrev_b64 v[0:1], 2, v[0:1]
	v_mov_b32_e32 v2, s3
	v_add_co_u32_e32 v0, vcc, s2, v0
	v_addc_co_u32_e32 v1, vcc, v2, v1, vcc
	global_store_dword v[0:1], v4, off
	s_endpgm
	.section	.rodata,"a",@progbits
	.p2align	6, 0x0
	.amdhsa_kernel _Z9AoSKernelILi4096EEvPK9AppleTreePi
		.amdhsa_group_segment_fixed_size 0
		.amdhsa_private_segment_fixed_size 0
		.amdhsa_kernarg_size 272
		.amdhsa_user_sgpr_count 6
		.amdhsa_user_sgpr_private_segment_buffer 1
		.amdhsa_user_sgpr_dispatch_ptr 0
		.amdhsa_user_sgpr_queue_ptr 0
		.amdhsa_user_sgpr_kernarg_segment_ptr 1
		.amdhsa_user_sgpr_dispatch_id 0
		.amdhsa_user_sgpr_flat_scratch_init 0
		.amdhsa_user_sgpr_private_segment_size 0
		.amdhsa_uses_dynamic_stack 0
		.amdhsa_system_sgpr_private_segment_wavefront_offset 0
		.amdhsa_system_sgpr_workgroup_id_x 1
		.amdhsa_system_sgpr_workgroup_id_y 0
		.amdhsa_system_sgpr_workgroup_id_z 0
		.amdhsa_system_sgpr_workgroup_info 0
		.amdhsa_system_vgpr_workitem_id 0
		.amdhsa_next_free_vgpr 23
		.amdhsa_next_free_sgpr 8
		.amdhsa_reserve_vcc 1
		.amdhsa_reserve_flat_scratch 0
		.amdhsa_float_round_mode_32 0
		.amdhsa_float_round_mode_16_64 0
		.amdhsa_float_denorm_mode_32 3
		.amdhsa_float_denorm_mode_16_64 3
		.amdhsa_dx10_clamp 1
		.amdhsa_ieee_mode 1
		.amdhsa_fp16_overflow 0
		.amdhsa_exception_fp_ieee_invalid_op 0
		.amdhsa_exception_fp_denorm_src 0
		.amdhsa_exception_fp_ieee_div_zero 0
		.amdhsa_exception_fp_ieee_overflow 0
		.amdhsa_exception_fp_ieee_underflow 0
		.amdhsa_exception_fp_ieee_inexact 0
		.amdhsa_exception_int_div_zero 0
	.end_amdhsa_kernel
	.section	.text._Z9AoSKernelILi4096EEvPK9AppleTreePi,"axG",@progbits,_Z9AoSKernelILi4096EEvPK9AppleTreePi,comdat
.Lfunc_end0:
	.size	_Z9AoSKernelILi4096EEvPK9AppleTreePi, .Lfunc_end0-_Z9AoSKernelILi4096EEvPK9AppleTreePi
                                        ; -- End function
	.set _Z9AoSKernelILi4096EEvPK9AppleTreePi.num_vgpr, 23
	.set _Z9AoSKernelILi4096EEvPK9AppleTreePi.num_agpr, 0
	.set _Z9AoSKernelILi4096EEvPK9AppleTreePi.numbered_sgpr, 8
	.set _Z9AoSKernelILi4096EEvPK9AppleTreePi.num_named_barrier, 0
	.set _Z9AoSKernelILi4096EEvPK9AppleTreePi.private_seg_size, 0
	.set _Z9AoSKernelILi4096EEvPK9AppleTreePi.uses_vcc, 1
	.set _Z9AoSKernelILi4096EEvPK9AppleTreePi.uses_flat_scratch, 0
	.set _Z9AoSKernelILi4096EEvPK9AppleTreePi.has_dyn_sized_stack, 0
	.set _Z9AoSKernelILi4096EEvPK9AppleTreePi.has_recursion, 0
	.set _Z9AoSKernelILi4096EEvPK9AppleTreePi.has_indirect_call, 0
	.section	.AMDGPU.csdata,"",@progbits
; Kernel info:
; codeLenInByte = 240
; TotalNumSgprs: 12
; NumVgprs: 23
; ScratchSize: 0
; MemoryBound: 0
; FloatMode: 240
; IeeeMode: 1
; LDSByteSize: 0 bytes/workgroup (compile time only)
; SGPRBlocks: 1
; VGPRBlocks: 5
; NumSGPRsForWavesPerEU: 12
; NumVGPRsForWavesPerEU: 23
; Occupancy: 10
; WaveLimiterHint : 0
; COMPUTE_PGM_RSRC2:SCRATCH_EN: 0
; COMPUTE_PGM_RSRC2:USER_SGPR: 6
; COMPUTE_PGM_RSRC2:TRAP_HANDLER: 0
; COMPUTE_PGM_RSRC2:TGID_X_EN: 1
; COMPUTE_PGM_RSRC2:TGID_Y_EN: 0
; COMPUTE_PGM_RSRC2:TGID_Z_EN: 0
; COMPUTE_PGM_RSRC2:TIDIG_COMP_CNT: 0
	.section	.text._Z9SoAKernelILi4096EEvPK13ApplesOnTreesPi,"axG",@progbits,_Z9SoAKernelILi4096EEvPK13ApplesOnTreesPi,comdat
	.protected	_Z9SoAKernelILi4096EEvPK13ApplesOnTreesPi ; -- Begin function _Z9SoAKernelILi4096EEvPK13ApplesOnTreesPi
	.globl	_Z9SoAKernelILi4096EEvPK13ApplesOnTreesPi
	.p2align	8
	.type	_Z9SoAKernelILi4096EEvPK13ApplesOnTreesPi,@function
_Z9SoAKernelILi4096EEvPK13ApplesOnTreesPi: ; @_Z9SoAKernelILi4096EEvPK13ApplesOnTreesPi
; %bb.0:
	s_load_dword s7, s[4:5], 0x1c
	s_load_dwordx4 s[0:3], s[4:5], 0x0
	v_mov_b32_e32 v1, 0
	s_waitcnt lgkmcnt(0)
	s_and_b32 s4, s7, 0xffff
	s_mul_i32 s6, s6, s4
	v_add_u32_e32 v0, s6, v0
	v_lshlrev_b64 v[2:3], 2, v[0:1]
	v_mov_b32_e32 v4, s1
	v_add_co_u32_e32 v0, vcc, s0, v2
	v_addc_co_u32_e32 v6, vcc, v4, v3, vcc
	s_mov_b64 s[4:5], 0
.LBB1_1:                                ; =>This Inner Loop Header: Depth=1
	v_mov_b32_e32 v5, s5
	v_add_co_u32_e32 v4, vcc, s4, v0
	v_addc_co_u32_e32 v5, vcc, v6, v5, vcc
	v_add_co_u32_e32 v7, vcc, 0x4000, v4
	s_mov_b64 s[0:1], vcc
	v_add_co_u32_e32 v9, vcc, 0x8000, v4
	v_addc_co_u32_e64 v8, s[0:1], 0, v5, s[0:1]
	s_mov_b64 s[0:1], vcc
	v_add_co_u32_e32 v11, vcc, 0xc000, v4
	v_addc_co_u32_e64 v10, s[0:1], 0, v5, s[0:1]
	s_mov_b64 s[0:1], vcc
	v_addc_co_u32_e64 v12, s[0:1], 0, v5, s[0:1]
	global_load_dword v13, v[4:5], off
	global_load_dword v14, v[7:8], off
	;; [unrolled: 1-line block ×4, first 2 shown]
	v_add_co_u32_e32 v7, vcc, 0x10000, v4
	s_mov_b64 s[0:1], vcc
	v_add_co_u32_e32 v9, vcc, 0x14000, v4
	v_addc_co_u32_e64 v8, s[0:1], 0, v5, s[0:1]
	s_mov_b64 s[0:1], vcc
	v_add_co_u32_e32 v11, vcc, 0x18000, v4
	v_addc_co_u32_e64 v10, s[0:1], 0, v5, s[0:1]
	s_mov_b64 s[0:1], vcc
	v_addc_co_u32_e64 v12, s[0:1], 0, v5, s[0:1]
	global_load_dword v17, v[7:8], off
	global_load_dword v18, v[9:10], off
	;; [unrolled: 1-line block ×3, first 2 shown]
	v_add_co_u32_e32 v7, vcc, 0x1c000, v4
	s_mov_b64 s[0:1], vcc
	v_add_co_u32_e32 v9, vcc, 0x20000, v4
	v_addc_co_u32_e64 v8, s[0:1], 0, v5, s[0:1]
	s_mov_b64 s[0:1], vcc
	v_add_co_u32_e32 v11, vcc, 0x24000, v4
	v_addc_co_u32_e64 v10, s[0:1], 0, v5, s[0:1]
	s_mov_b64 s[0:1], vcc
	v_addc_co_u32_e64 v12, s[0:1], 0, v5, s[0:1]
	global_load_dword v20, v[7:8], off
	global_load_dword v21, v[9:10], off
	;; [unrolled: 1-line block ×3, first 2 shown]
	v_add_co_u32_e32 v7, vcc, 0x28000, v4
	s_mov_b64 s[0:1], vcc
	v_add_co_u32_e32 v9, vcc, 0x2c000, v4
	v_addc_co_u32_e64 v8, s[0:1], 0, v5, s[0:1]
	s_mov_b64 s[0:1], vcc
	v_add_co_u32_e32 v11, vcc, 0x30000, v4
	v_addc_co_u32_e64 v10, s[0:1], 0, v5, s[0:1]
	s_mov_b64 s[0:1], vcc
	global_load_dword v23, v[7:8], off
	global_load_dword v24, v[9:10], off
	v_add_co_u32_e32 v7, vcc, 0x34000, v4
	v_addc_co_u32_e64 v12, s[0:1], 0, v5, s[0:1]
	s_mov_b64 s[0:1], vcc
	v_add_co_u32_e32 v9, vcc, 0x38000, v4
	v_addc_co_u32_e64 v8, s[0:1], 0, v5, s[0:1]
	s_mov_b64 s[0:1], vcc
	global_load_dword v11, v[11:12], off
	v_add_co_u32_e32 v4, vcc, 0x3c000, v4
	v_addc_co_u32_e64 v10, s[0:1], 0, v5, s[0:1]
	global_load_dword v7, v[7:8], off
	v_addc_co_u32_e32 v5, vcc, 0, v5, vcc
	global_load_dword v8, v[9:10], off
	global_load_dword v12, v[4:5], off
	s_add_u32 s4, s4, 0x40000
	s_addc_u32 s5, s5, 0
	s_cmp_eq_u32 s4, 0x4000000
	s_waitcnt vmcnt(14)
	v_add3_u32 v1, v13, v1, v14
	s_waitcnt vmcnt(12)
	v_add3_u32 v1, v15, v1, v16
	;; [unrolled: 2-line block ×8, first 2 shown]
	s_cbranch_scc0 .LBB1_1
; %bb.2:
	v_mov_b32_e32 v0, s3
	v_add_co_u32_e32 v2, vcc, s2, v2
	v_addc_co_u32_e32 v3, vcc, v0, v3, vcc
	global_store_dword v[2:3], v1, off
	s_endpgm
	.section	.rodata,"a",@progbits
	.p2align	6, 0x0
	.amdhsa_kernel _Z9SoAKernelILi4096EEvPK13ApplesOnTreesPi
		.amdhsa_group_segment_fixed_size 0
		.amdhsa_private_segment_fixed_size 0
		.amdhsa_kernarg_size 272
		.amdhsa_user_sgpr_count 6
		.amdhsa_user_sgpr_private_segment_buffer 1
		.amdhsa_user_sgpr_dispatch_ptr 0
		.amdhsa_user_sgpr_queue_ptr 0
		.amdhsa_user_sgpr_kernarg_segment_ptr 1
		.amdhsa_user_sgpr_dispatch_id 0
		.amdhsa_user_sgpr_flat_scratch_init 0
		.amdhsa_user_sgpr_private_segment_size 0
		.amdhsa_uses_dynamic_stack 0
		.amdhsa_system_sgpr_private_segment_wavefront_offset 0
		.amdhsa_system_sgpr_workgroup_id_x 1
		.amdhsa_system_sgpr_workgroup_id_y 0
		.amdhsa_system_sgpr_workgroup_id_z 0
		.amdhsa_system_sgpr_workgroup_info 0
		.amdhsa_system_vgpr_workitem_id 0
		.amdhsa_next_free_vgpr 25
		.amdhsa_next_free_sgpr 8
		.amdhsa_reserve_vcc 1
		.amdhsa_reserve_flat_scratch 0
		.amdhsa_float_round_mode_32 0
		.amdhsa_float_round_mode_16_64 0
		.amdhsa_float_denorm_mode_32 3
		.amdhsa_float_denorm_mode_16_64 3
		.amdhsa_dx10_clamp 1
		.amdhsa_ieee_mode 1
		.amdhsa_fp16_overflow 0
		.amdhsa_exception_fp_ieee_invalid_op 0
		.amdhsa_exception_fp_denorm_src 0
		.amdhsa_exception_fp_ieee_div_zero 0
		.amdhsa_exception_fp_ieee_overflow 0
		.amdhsa_exception_fp_ieee_underflow 0
		.amdhsa_exception_fp_ieee_inexact 0
		.amdhsa_exception_int_div_zero 0
	.end_amdhsa_kernel
	.section	.text._Z9SoAKernelILi4096EEvPK13ApplesOnTreesPi,"axG",@progbits,_Z9SoAKernelILi4096EEvPK13ApplesOnTreesPi,comdat
.Lfunc_end1:
	.size	_Z9SoAKernelILi4096EEvPK13ApplesOnTreesPi, .Lfunc_end1-_Z9SoAKernelILi4096EEvPK13ApplesOnTreesPi
                                        ; -- End function
	.set _Z9SoAKernelILi4096EEvPK13ApplesOnTreesPi.num_vgpr, 25
	.set _Z9SoAKernelILi4096EEvPK13ApplesOnTreesPi.num_agpr, 0
	.set _Z9SoAKernelILi4096EEvPK13ApplesOnTreesPi.numbered_sgpr, 8
	.set _Z9SoAKernelILi4096EEvPK13ApplesOnTreesPi.num_named_barrier, 0
	.set _Z9SoAKernelILi4096EEvPK13ApplesOnTreesPi.private_seg_size, 0
	.set _Z9SoAKernelILi4096EEvPK13ApplesOnTreesPi.uses_vcc, 1
	.set _Z9SoAKernelILi4096EEvPK13ApplesOnTreesPi.uses_flat_scratch, 0
	.set _Z9SoAKernelILi4096EEvPK13ApplesOnTreesPi.has_dyn_sized_stack, 0
	.set _Z9SoAKernelILi4096EEvPK13ApplesOnTreesPi.has_recursion, 0
	.set _Z9SoAKernelILi4096EEvPK13ApplesOnTreesPi.has_indirect_call, 0
	.section	.AMDGPU.csdata,"",@progbits
; Kernel info:
; codeLenInByte = 640
; TotalNumSgprs: 12
; NumVgprs: 25
; ScratchSize: 0
; MemoryBound: 0
; FloatMode: 240
; IeeeMode: 1
; LDSByteSize: 0 bytes/workgroup (compile time only)
; SGPRBlocks: 1
; VGPRBlocks: 6
; NumSGPRsForWavesPerEU: 12
; NumVGPRsForWavesPerEU: 25
; Occupancy: 9
; WaveLimiterHint : 1
; COMPUTE_PGM_RSRC2:SCRATCH_EN: 0
; COMPUTE_PGM_RSRC2:USER_SGPR: 6
; COMPUTE_PGM_RSRC2:TRAP_HANDLER: 0
; COMPUTE_PGM_RSRC2:TGID_X_EN: 1
; COMPUTE_PGM_RSRC2:TGID_Y_EN: 0
; COMPUTE_PGM_RSRC2:TGID_Z_EN: 0
; COMPUTE_PGM_RSRC2:TIDIG_COMP_CNT: 0
	.section	.AMDGPU.gpr_maximums,"",@progbits
	.set amdgpu.max_num_vgpr, 0
	.set amdgpu.max_num_agpr, 0
	.set amdgpu.max_num_sgpr, 0
	.section	.AMDGPU.csdata,"",@progbits
	.type	__hip_cuid_ff5e61bdced79422,@object ; @__hip_cuid_ff5e61bdced79422
	.section	.bss,"aw",@nobits
	.globl	__hip_cuid_ff5e61bdced79422
__hip_cuid_ff5e61bdced79422:
	.byte	0                               ; 0x0
	.size	__hip_cuid_ff5e61bdced79422, 1

	.ident	"AMD clang version 22.0.0git (https://github.com/RadeonOpenCompute/llvm-project roc-7.2.4 26084 f58b06dce1f9c15707c5f808fd002e18c2accf7e)"
	.section	".note.GNU-stack","",@progbits
	.addrsig
	.addrsig_sym __hip_cuid_ff5e61bdced79422
	.amdgpu_metadata
---
amdhsa.kernels:
  - .args:
      - .actual_access:  read_only
        .address_space:  global
        .offset:         0
        .size:           8
        .value_kind:     global_buffer
      - .actual_access:  write_only
        .address_space:  global
        .offset:         8
        .size:           8
        .value_kind:     global_buffer
      - .offset:         16
        .size:           4
        .value_kind:     hidden_block_count_x
      - .offset:         20
        .size:           4
        .value_kind:     hidden_block_count_y
      - .offset:         24
        .size:           4
        .value_kind:     hidden_block_count_z
      - .offset:         28
        .size:           2
        .value_kind:     hidden_group_size_x
      - .offset:         30
        .size:           2
        .value_kind:     hidden_group_size_y
      - .offset:         32
        .size:           2
        .value_kind:     hidden_group_size_z
      - .offset:         34
        .size:           2
        .value_kind:     hidden_remainder_x
      - .offset:         36
        .size:           2
        .value_kind:     hidden_remainder_y
      - .offset:         38
        .size:           2
        .value_kind:     hidden_remainder_z
      - .offset:         56
        .size:           8
        .value_kind:     hidden_global_offset_x
      - .offset:         64
        .size:           8
        .value_kind:     hidden_global_offset_y
      - .offset:         72
        .size:           8
        .value_kind:     hidden_global_offset_z
      - .offset:         80
        .size:           2
        .value_kind:     hidden_grid_dims
    .group_segment_fixed_size: 0
    .kernarg_segment_align: 8
    .kernarg_segment_size: 272
    .language:       OpenCL C
    .language_version:
      - 2
      - 0
    .max_flat_workgroup_size: 1024
    .name:           _Z9AoSKernelILi4096EEvPK9AppleTreePi
    .private_segment_fixed_size: 0
    .sgpr_count:     12
    .sgpr_spill_count: 0
    .symbol:         _Z9AoSKernelILi4096EEvPK9AppleTreePi.kd
    .uniform_work_group_size: 1
    .uses_dynamic_stack: false
    .vgpr_count:     23
    .vgpr_spill_count: 0
    .wavefront_size: 64
  - .args:
      - .actual_access:  read_only
        .address_space:  global
        .offset:         0
        .size:           8
        .value_kind:     global_buffer
      - .actual_access:  write_only
        .address_space:  global
        .offset:         8
        .size:           8
        .value_kind:     global_buffer
      - .offset:         16
        .size:           4
        .value_kind:     hidden_block_count_x
      - .offset:         20
        .size:           4
        .value_kind:     hidden_block_count_y
      - .offset:         24
        .size:           4
        .value_kind:     hidden_block_count_z
      - .offset:         28
        .size:           2
        .value_kind:     hidden_group_size_x
      - .offset:         30
        .size:           2
        .value_kind:     hidden_group_size_y
      - .offset:         32
        .size:           2
        .value_kind:     hidden_group_size_z
      - .offset:         34
        .size:           2
        .value_kind:     hidden_remainder_x
      - .offset:         36
        .size:           2
        .value_kind:     hidden_remainder_y
      - .offset:         38
        .size:           2
        .value_kind:     hidden_remainder_z
      - .offset:         56
        .size:           8
        .value_kind:     hidden_global_offset_x
      - .offset:         64
        .size:           8
        .value_kind:     hidden_global_offset_y
      - .offset:         72
        .size:           8
        .value_kind:     hidden_global_offset_z
      - .offset:         80
        .size:           2
        .value_kind:     hidden_grid_dims
    .group_segment_fixed_size: 0
    .kernarg_segment_align: 8
    .kernarg_segment_size: 272
    .language:       OpenCL C
    .language_version:
      - 2
      - 0
    .max_flat_workgroup_size: 1024
    .name:           _Z9SoAKernelILi4096EEvPK13ApplesOnTreesPi
    .private_segment_fixed_size: 0
    .sgpr_count:     12
    .sgpr_spill_count: 0
    .symbol:         _Z9SoAKernelILi4096EEvPK13ApplesOnTreesPi.kd
    .uniform_work_group_size: 1
    .uses_dynamic_stack: false
    .vgpr_count:     25
    .vgpr_spill_count: 0
    .wavefront_size: 64
amdhsa.target:   amdgcn-amd-amdhsa--gfx906
amdhsa.version:
  - 1
  - 2
...

	.end_amdgpu_metadata
